;; amdgpu-corpus repo=triton-lang/triton kind=triton arch=gfx950 opt=O3 lang=triton
	.amdgcn_target "amdgcn-amd-amdhsa--gfx950"
	.amdhsa_code_object_version 5
	.text
	.globl	transpose_kernel                ; -- Begin function transpose_kernel
	.p2align	8
	.type	transpose_kernel,@function
transpose_kernel:                       ; @transpose_kernel
.Lfunc_begin0:
	.cfi_sections .debug_frame
	.cfi_startproc
; %bb.33:
	.file	1 "/root/src/amdgpu-assembly/repos/triton-lang__triton-aot" "transpose_2d.py"
	.loc	1 7 0 prologue_end              ; transpose_2d.py:7:0
	s_load_dwordx2 s[2:3], s[0:1], 0x0
	s_load_dwordx8 s[4:11], s[0:1], 0x8
	s_load_dwordx4 s[12:15], s[0:1], 0x28
	s_waitcnt lgkmcnt(0)
	s_branch .LBB0_0
	.loc	1 0 0 is_stmt 0                 ; :0:0
.Ltmp0:
	.p2align	8
; %bb.34:
.LBB0_0:
.Ltmp1:
	.loc	1 19 13 is_stmt 1               ; transpose_2d.py:19:13
	v_readfirstlane_b32 s19, v0
	.loc	1 12 17                         ; transpose_2d.py:12:17
	s_lshl_b32 s20, s16, 6
	.loc	1 12 40 is_stmt 0               ; transpose_2d.py:12:40
	s_bfe_u32 s21, s19, 0x30006
	v_and_b32_e32 v5, 63, v0
	.loc	1 12 27                         ; transpose_2d.py:12:27
	s_or_b32 s13, s21, s20
	.loc	1 13 17 is_stmt 1               ; transpose_2d.py:13:17
	s_lshl_b32 s12, s17, 6
	.loc	1 13 27 is_stmt 0               ; transpose_2d.py:13:27
	v_or_b32_e32 v1, s12, v5
	.loc	1 14 26 is_stmt 1               ; transpose_2d.py:14:26
	s_cmp_lt_i32 s13, s6
	s_cselect_b64 s[0:1], -1, 0
	.loc	1 14 46 is_stmt 0               ; transpose_2d.py:14:46
	v_cmp_gt_i32_e32 vcc, s7, v1
	.loc	1 15 65 is_stmt 1               ; transpose_2d.py:15:65
	v_mul_lo_u32 v2, s9, v1
	.loc	1 14 32                         ; transpose_2d.py:14:32
	s_and_b64 s[14:15], vcc, s[0:1]
	.loc	1 15 51                         ; transpose_2d.py:15:51
	v_ashrrev_i32_e32 v3, 31, v2
	v_mov_b32_e32 v1, 0
	v_mov_b32_e32 v4, 0
	.loc	1 15 16 is_stmt 0               ; transpose_2d.py:15:16
	s_and_saveexec_b64 s[0:1], s[14:15]
	s_cbranch_execz .LBB0_2
; %bb.1:
	.loc	1 0 16                          ; transpose_2d.py:0:16
	s_mul_i32 s14, s13, s8
	s_ashr_i32 s15, s14, 31
	s_lshl_b64 s[14:15], s[14:15], 2
	s_add_u32 s14, s2, s14
	s_addc_u32 s15, s3, s15
	v_lshl_add_u64 v[6:7], v[2:3], 2, s[14:15]
	.loc	1 15 16                         ; transpose_2d.py:15:16
	global_load_dword v4, v[6:7], off
.LBB0_2:
	.loc	1 0 16                          ; transpose_2d.py:0:16
	s_or_b64 exec, exec, s[0:1]
	.loc	1 12 40 is_stmt 1               ; transpose_2d.py:12:40
	s_or_b32 s9, s21, 8
	.loc	1 12 27 is_stmt 0               ; transpose_2d.py:12:27
	s_or_b32 s13, s9, s20
	.loc	1 14 26 is_stmt 1               ; transpose_2d.py:14:26
	s_cmp_lt_i32 s13, s6
	s_cselect_b64 s[0:1], -1, 0
	.loc	1 14 32 is_stmt 0               ; transpose_2d.py:14:32
	s_and_b64 s[14:15], vcc, s[0:1]
	.loc	1 15 16 is_stmt 1               ; transpose_2d.py:15:16
	s_and_saveexec_b64 s[0:1], s[14:15]
	s_cbranch_execz .LBB0_4
; %bb.3:
	.loc	1 15 39 is_stmt 0               ; transpose_2d.py:15:39
	s_mul_i32 s14, s13, s8
	.loc	1 15 25                         ; transpose_2d.py:15:25
	s_ashr_i32 s15, s14, 31
	s_lshl_b64 s[14:15], s[14:15], 2
	s_add_u32 s14, s2, s14
	s_addc_u32 s15, s3, s15
	.loc	1 15 51                         ; transpose_2d.py:15:51
	v_lshl_add_u64 v[6:7], v[2:3], 2, s[14:15]
	.loc	1 15 16                         ; transpose_2d.py:15:16
	global_load_dword v1, v[6:7], off
.LBB0_4:
	.loc	1 0 16                          ; transpose_2d.py:0:16
	s_or_b64 exec, exec, s[0:1]
	.loc	1 12 40 is_stmt 1               ; transpose_2d.py:12:40
	s_or_b32 s13, s21, 16
	.loc	1 12 27 is_stmt 0               ; transpose_2d.py:12:27
	s_or_b32 s14, s13, s20
	.loc	1 14 26 is_stmt 1               ; transpose_2d.py:14:26
	s_cmp_lt_i32 s14, s6
	s_cselect_b64 s[0:1], -1, 0
	.loc	1 14 32 is_stmt 0               ; transpose_2d.py:14:32
	s_and_b64 s[16:17], vcc, s[0:1]
	v_mov_b32_e32 v6, 0
	v_mov_b32_e32 v7, 0
	.loc	1 15 16 is_stmt 1               ; transpose_2d.py:15:16
	s_and_saveexec_b64 s[0:1], s[16:17]
	s_cbranch_execz .LBB0_6
; %bb.5:
	.loc	1 15 39 is_stmt 0               ; transpose_2d.py:15:39
	s_mul_i32 s14, s14, s8
	.loc	1 15 25                         ; transpose_2d.py:15:25
	s_ashr_i32 s15, s14, 31
	s_lshl_b64 s[14:15], s[14:15], 2
	s_add_u32 s14, s2, s14
	s_addc_u32 s15, s3, s15
	.loc	1 15 51                         ; transpose_2d.py:15:51
	v_lshl_add_u64 v[8:9], v[2:3], 2, s[14:15]
	.loc	1 15 16                         ; transpose_2d.py:15:16
	global_load_dword v7, v[8:9], off
.LBB0_6:
	.loc	1 0 16                          ; transpose_2d.py:0:16
	s_or_b64 exec, exec, s[0:1]
	.loc	1 12 40 is_stmt 1               ; transpose_2d.py:12:40
	s_or_b32 s14, s21, 24
	.loc	1 12 27 is_stmt 0               ; transpose_2d.py:12:27
	s_or_b32 s15, s14, s20
	.loc	1 14 26 is_stmt 1               ; transpose_2d.py:14:26
	s_cmp_lt_i32 s15, s6
	s_cselect_b64 s[0:1], -1, 0
	.loc	1 14 32 is_stmt 0               ; transpose_2d.py:14:32
	s_and_b64 s[16:17], vcc, s[0:1]
	.loc	1 15 16 is_stmt 1               ; transpose_2d.py:15:16
	s_and_saveexec_b64 s[0:1], s[16:17]
	s_cbranch_execz .LBB0_8
; %bb.7:
	.loc	1 15 39 is_stmt 0               ; transpose_2d.py:15:39
	s_mul_i32 s16, s15, s8
	.loc	1 15 25                         ; transpose_2d.py:15:25
	s_ashr_i32 s17, s16, 31
	s_lshl_b64 s[16:17], s[16:17], 2
	s_add_u32 s16, s2, s16
	s_addc_u32 s17, s3, s17
	.loc	1 15 51                         ; transpose_2d.py:15:51
	v_lshl_add_u64 v[8:9], v[2:3], 2, s[16:17]
	.loc	1 15 16                         ; transpose_2d.py:15:16
	global_load_dword v6, v[8:9], off
.LBB0_8:
	.loc	1 0 16                          ; transpose_2d.py:0:16
	s_or_b64 exec, exec, s[0:1]
	.loc	1 12 40 is_stmt 1               ; transpose_2d.py:12:40
	s_or_b32 s15, s21, 32
	.loc	1 12 27 is_stmt 0               ; transpose_2d.py:12:27
	s_or_b32 s16, s15, s20
	.loc	1 14 26 is_stmt 1               ; transpose_2d.py:14:26
	s_cmp_lt_i32 s16, s6
	s_cselect_b64 s[0:1], -1, 0
	.loc	1 14 32 is_stmt 0               ; transpose_2d.py:14:32
	s_and_b64 s[22:23], vcc, s[0:1]
	v_mov_b32_e32 v8, 0
	v_mov_b32_e32 v9, 0
	.loc	1 15 16 is_stmt 1               ; transpose_2d.py:15:16
	s_and_saveexec_b64 s[0:1], s[22:23]
	s_cbranch_execz .LBB0_10
; %bb.9:
	.loc	1 15 39 is_stmt 0               ; transpose_2d.py:15:39
	s_mul_i32 s16, s16, s8
	.loc	1 15 25                         ; transpose_2d.py:15:25
	s_ashr_i32 s17, s16, 31
	s_lshl_b64 s[16:17], s[16:17], 2
	s_add_u32 s16, s2, s16
	s_addc_u32 s17, s3, s17
	.loc	1 15 51                         ; transpose_2d.py:15:51
	v_lshl_add_u64 v[10:11], v[2:3], 2, s[16:17]
	.loc	1 15 16                         ; transpose_2d.py:15:16
	global_load_dword v9, v[10:11], off
.LBB0_10:
	;; [unrolled: 56-line block ×3, first 2 shown]
	.loc	1 0 16                          ; transpose_2d.py:0:16
	s_or_b64 exec, exec, s[0:1]
	.loc	1 12 40 is_stmt 1               ; transpose_2d.py:12:40
	s_or_b32 s18, s21, 56
	.loc	1 12 27 is_stmt 0               ; transpose_2d.py:12:27
	s_or_b32 s22, s18, s20
	.loc	1 14 26 is_stmt 1               ; transpose_2d.py:14:26
	s_cmp_lt_i32 s22, s6
	s_cselect_b64 s[0:1], -1, 0
	.loc	1 14 32 is_stmt 0               ; transpose_2d.py:14:32
	s_and_b64 s[24:25], vcc, s[0:1]
	.loc	1 15 16 is_stmt 1               ; transpose_2d.py:15:16
	s_and_saveexec_b64 s[0:1], s[24:25]
	s_cbranch_execz .LBB0_16
; %bb.15:
	.loc	1 15 39 is_stmt 0               ; transpose_2d.py:15:39
	s_mul_i32 s22, s22, s8
	.loc	1 15 25                         ; transpose_2d.py:15:25
	s_ashr_i32 s23, s22, 31
	s_lshl_b64 s[22:23], s[22:23], 2
	s_add_u32 s2, s2, s22
	s_addc_u32 s3, s3, s23
	.loc	1 15 51                         ; transpose_2d.py:15:51
	v_lshl_add_u64 v[2:3], v[2:3], 2, s[2:3]
	.loc	1 15 16                         ; transpose_2d.py:15:16
	global_load_dword v10, v[2:3], off
.LBB0_16:
	.loc	1 0 16                          ; transpose_2d.py:0:16
	s_or_b64 exec, exec, s[0:1]
	.loc	1 13 27 is_stmt 1               ; transpose_2d.py:13:27
	s_or_b32 s2, s21, s12
	.loc	1 17 30                         ; transpose_2d.py:17:30
	s_cmp_lt_i32 s2, s7
	.loc	1 19 13                         ; transpose_2d.py:19:13
	v_lshlrev_b32_e32 v3, 4, v0
	.loc	1 12 27                         ; transpose_2d.py:12:27
	v_or_b32_e32 v12, s20, v5
	.loc	1 17 30                         ; transpose_2d.py:17:30
	s_cselect_b64 s[0:1], -1, 0
	.loc	1 19 13                         ; transpose_2d.py:19:13
	v_lshlrev_b32_e32 v2, 6, v0
	v_and_b32_e32 v3, 0x60, v3
	v_lshrrev_b32_e32 v5, 1, v0
	s_and_b32 s3, s19, 0x180
	s_movk_i32 s21, 0xf80
	v_and_b32_e32 v5, 28, v5
	s_lshr_b32 s8, s3, 2
	v_and_b32_e32 v0, 1, v0
	s_and_b32 s19, s19, 64
	v_and_or_b32 v2, v2, s21, v3
	v_lshlrev_b32_e32 v13, 12, v0
	s_lshl_b32 s20, s19, 7
	v_bitop3_b32 v2, s8, v2, v5 bitop3:0x36
	v_or3_b32 v2, s20, v13, v2
	v_add_u32_e32 v13, 0, v2
	s_waitcnt vmcnt(0)
	ds_write_b32 v13, v4
	v_xad_u32 v4, v2, 4, 0
	ds_write_b32 v4, v1
	v_xad_u32 v1, v2, 8, 0
	;; [unrolled: 2-line block ×7, first 2 shown]
	ds_write_b32 v1, v10
	v_or_b32_e32 v1, s3, v3
	v_lshlrev_b32_e32 v0, 13, v0
	s_lshl_b32 s19, s19, 6
	v_bitop3_b32 v1, s8, v1, v5 bitop3:0x36
	v_or3_b32 v2, s19, v0, v1
	v_xad_u32 v0, v2, 4, 0
	v_xad_u32 v3, v2, 12, 0
	v_xad_u32 v4, v2, 16, 0
	v_xad_u32 v5, v2, 20, 0
	s_waitcnt lgkmcnt(0)
	s_barrier
	v_xad_u32 v1, v2, 8, 0
	v_xad_u32 v10, v2, 24, 0
	;; [unrolled: 1-line block ×3, first 2 shown]
	ds_read_b32 v9, v0 offset:512
	ds_read_b32 v8, v1 offset:1024
	;; [unrolled: 1-line block ×7, first 2 shown]
	.loc	1 17 50                         ; transpose_2d.py:17:50
	v_cmp_gt_i32_e32 vcc, s6, v12
	.loc	1 18 63                         ; transpose_2d.py:18:63
	v_mul_lo_u32 v0, s11, v12
	.loc	1 17 36                         ; transpose_2d.py:17:36
	s_and_b64 s[20:21], vcc, s[0:1]
	.loc	1 18 49                         ; transpose_2d.py:18:49
	v_ashrrev_i32_e32 v1, 31, v0
	.loc	1 19 13                         ; transpose_2d.py:19:13
	s_and_saveexec_b64 s[0:1], s[20:21]
	s_cbranch_execz .LBB0_18
; %bb.17:
	v_add_u32_e32 v2, 0, v2
	.loc	1 18 37                         ; transpose_2d.py:18:37
	s_mul_i32 s2, s2, s10
	.loc	1 18 23 is_stmt 0               ; transpose_2d.py:18:23
	s_ashr_i32 s3, s2, 31
	.loc	1 19 13 is_stmt 1               ; transpose_2d.py:19:13
	ds_read_b32 v2, v2
	.loc	1 18 23                         ; transpose_2d.py:18:23
	s_lshl_b64 s[2:3], s[2:3], 2
	s_add_u32 s2, s4, s2
	s_addc_u32 s3, s5, s3
	.loc	1 18 49 is_stmt 0               ; transpose_2d.py:18:49
	v_lshl_add_u64 v[10:11], v[0:1], 2, s[2:3]
	.loc	1 19 13 is_stmt 1               ; transpose_2d.py:19:13
	s_waitcnt lgkmcnt(0)
	global_store_dword v[10:11], v2, off
.LBB0_18:
	.loc	1 0 13 is_stmt 0                ; transpose_2d.py:0:13
	s_or_b64 exec, exec, s[0:1]
	.loc	1 13 27 is_stmt 1               ; transpose_2d.py:13:27
	s_or_b32 s2, s9, s12
	.loc	1 17 30                         ; transpose_2d.py:17:30
	s_cmp_lt_i32 s2, s7
	s_cselect_b64 s[0:1], -1, 0
	.loc	1 17 36 is_stmt 0               ; transpose_2d.py:17:36
	s_and_b64 s[8:9], vcc, s[0:1]
	.loc	1 19 13 is_stmt 1               ; transpose_2d.py:19:13
	s_and_saveexec_b64 s[0:1], s[8:9]
	s_cbranch_execz .LBB0_20
; %bb.19:
	.loc	1 18 37                         ; transpose_2d.py:18:37
	s_mul_i32 s2, s2, s10
	.loc	1 18 23 is_stmt 0               ; transpose_2d.py:18:23
	s_ashr_i32 s3, s2, 31
	s_lshl_b64 s[2:3], s[2:3], 2
	s_add_u32 s2, s4, s2
	s_addc_u32 s3, s5, s3
	.loc	1 18 49                         ; transpose_2d.py:18:49
	v_lshl_add_u64 v[10:11], v[0:1], 2, s[2:3]
	.loc	1 19 13 is_stmt 1               ; transpose_2d.py:19:13
	s_waitcnt lgkmcnt(6)
	global_store_dword v[10:11], v9, off
.LBB0_20:
	.loc	1 0 13 is_stmt 0                ; transpose_2d.py:0:13
	s_or_b64 exec, exec, s[0:1]
	.loc	1 13 27 is_stmt 1               ; transpose_2d.py:13:27
	s_or_b32 s2, s13, s12
	.loc	1 17 30                         ; transpose_2d.py:17:30
	s_cmp_lt_i32 s2, s7
	s_cselect_b64 s[0:1], -1, 0
	.loc	1 17 36 is_stmt 0               ; transpose_2d.py:17:36
	s_and_b64 s[8:9], vcc, s[0:1]
	.loc	1 19 13 is_stmt 1               ; transpose_2d.py:19:13
	s_and_saveexec_b64 s[0:1], s[8:9]
	s_cbranch_execz .LBB0_22
; %bb.21:
	.loc	1 18 37                         ; transpose_2d.py:18:37
	s_mul_i32 s2, s2, s10
	.loc	1 18 23 is_stmt 0               ; transpose_2d.py:18:23
	s_ashr_i32 s3, s2, 31
	s_lshl_b64 s[2:3], s[2:3], 2
	s_add_u32 s2, s4, s2
	s_addc_u32 s3, s5, s3
	.loc	1 18 49                         ; transpose_2d.py:18:49
	v_lshl_add_u64 v[10:11], v[0:1], 2, s[2:3]
	.loc	1 19 13 is_stmt 1               ; transpose_2d.py:19:13
	s_waitcnt lgkmcnt(5)
	global_store_dword v[10:11], v8, off
.LBB0_22:
	.loc	1 0 13 is_stmt 0                ; transpose_2d.py:0:13
	s_or_b64 exec, exec, s[0:1]
	.loc	1 13 27 is_stmt 1               ; transpose_2d.py:13:27
	s_or_b32 s2, s14, s12
	.loc	1 17 30                         ; transpose_2d.py:17:30
	s_cmp_lt_i32 s2, s7
	s_cselect_b64 s[0:1], -1, 0
	.loc	1 17 36 is_stmt 0               ; transpose_2d.py:17:36
	s_and_b64 s[8:9], vcc, s[0:1]
	.loc	1 19 13 is_stmt 1               ; transpose_2d.py:19:13
	s_and_saveexec_b64 s[0:1], s[8:9]
	s_cbranch_execz .LBB0_24
; %bb.23:
	.loc	1 18 37                         ; transpose_2d.py:18:37
	s_mul_i32 s2, s2, s10
	.loc	1 18 23 is_stmt 0               ; transpose_2d.py:18:23
	s_ashr_i32 s3, s2, 31
	s_lshl_b64 s[2:3], s[2:3], 2
	s_add_u32 s2, s4, s2
	s_addc_u32 s3, s5, s3
	.loc	1 18 49                         ; transpose_2d.py:18:49
	s_waitcnt lgkmcnt(5)
	v_lshl_add_u64 v[8:9], v[0:1], 2, s[2:3]
	.loc	1 19 13 is_stmt 1               ; transpose_2d.py:19:13
	s_waitcnt lgkmcnt(4)
	global_store_dword v[8:9], v7, off
.LBB0_24:
	.loc	1 0 13 is_stmt 0                ; transpose_2d.py:0:13
	s_or_b64 exec, exec, s[0:1]
	.loc	1 13 27 is_stmt 1               ; transpose_2d.py:13:27
	s_or_b32 s2, s15, s12
	.loc	1 17 30                         ; transpose_2d.py:17:30
	s_cmp_lt_i32 s2, s7
	s_cselect_b64 s[0:1], -1, 0
	.loc	1 17 36 is_stmt 0               ; transpose_2d.py:17:36
	s_and_b64 s[8:9], vcc, s[0:1]
	.loc	1 19 13 is_stmt 1               ; transpose_2d.py:19:13
	s_and_saveexec_b64 s[0:1], s[8:9]
	s_cbranch_execz .LBB0_26
; %bb.25:
	.loc	1 18 37                         ; transpose_2d.py:18:37
	s_mul_i32 s2, s2, s10
	.loc	1 18 23 is_stmt 0               ; transpose_2d.py:18:23
	s_ashr_i32 s3, s2, 31
	s_lshl_b64 s[2:3], s[2:3], 2
	s_add_u32 s2, s4, s2
	s_addc_u32 s3, s5, s3
	.loc	1 18 49                         ; transpose_2d.py:18:49
	s_waitcnt lgkmcnt(5)
	v_lshl_add_u64 v[8:9], v[0:1], 2, s[2:3]
	.loc	1 19 13 is_stmt 1               ; transpose_2d.py:19:13
	s_waitcnt lgkmcnt(3)
	global_store_dword v[8:9], v6, off
.LBB0_26:
	.loc	1 0 13 is_stmt 0                ; transpose_2d.py:0:13
	s_or_b64 exec, exec, s[0:1]
	.loc	1 13 27 is_stmt 1               ; transpose_2d.py:13:27
	s_or_b32 s2, s16, s12
	.loc	1 17 30                         ; transpose_2d.py:17:30
	s_cmp_lt_i32 s2, s7
	s_cselect_b64 s[0:1], -1, 0
	.loc	1 17 36 is_stmt 0               ; transpose_2d.py:17:36
	s_and_b64 s[8:9], vcc, s[0:1]
	.loc	1 19 13 is_stmt 1               ; transpose_2d.py:19:13
	s_and_saveexec_b64 s[0:1], s[8:9]
	s_cbranch_execz .LBB0_28
; %bb.27:
	.loc	1 18 37                         ; transpose_2d.py:18:37
	s_mul_i32 s2, s2, s10
	.loc	1 18 23 is_stmt 0               ; transpose_2d.py:18:23
	s_ashr_i32 s3, s2, 31
	s_lshl_b64 s[2:3], s[2:3], 2
	s_add_u32 s2, s4, s2
	s_addc_u32 s3, s5, s3
	.loc	1 18 49                         ; transpose_2d.py:18:49
	s_waitcnt lgkmcnt(3)
	v_lshl_add_u64 v[6:7], v[0:1], 2, s[2:3]
	.loc	1 19 13 is_stmt 1               ; transpose_2d.py:19:13
	s_waitcnt lgkmcnt(2)
	global_store_dword v[6:7], v5, off
.LBB0_28:
	.loc	1 0 13 is_stmt 0                ; transpose_2d.py:0:13
	s_or_b64 exec, exec, s[0:1]
	.loc	1 13 27 is_stmt 1               ; transpose_2d.py:13:27
	s_or_b32 s2, s17, s12
	.loc	1 17 30                         ; transpose_2d.py:17:30
	s_cmp_lt_i32 s2, s7
	s_cselect_b64 s[0:1], -1, 0
	.loc	1 17 36 is_stmt 0               ; transpose_2d.py:17:36
	s_and_b64 s[8:9], vcc, s[0:1]
	.loc	1 19 13 is_stmt 1               ; transpose_2d.py:19:13
	s_and_saveexec_b64 s[0:1], s[8:9]
	s_cbranch_execz .LBB0_30
; %bb.29:
	.loc	1 18 37                         ; transpose_2d.py:18:37
	s_mul_i32 s2, s2, s10
	.loc	1 18 23 is_stmt 0               ; transpose_2d.py:18:23
	s_ashr_i32 s3, s2, 31
	s_lshl_b64 s[2:3], s[2:3], 2
	s_add_u32 s2, s4, s2
	s_addc_u32 s3, s5, s3
	.loc	1 18 49                         ; transpose_2d.py:18:49
	s_waitcnt lgkmcnt(3)
	v_lshl_add_u64 v[6:7], v[0:1], 2, s[2:3]
	.loc	1 19 13 is_stmt 1               ; transpose_2d.py:19:13
	s_waitcnt lgkmcnt(1)
	global_store_dword v[6:7], v4, off
.LBB0_30:
	.loc	1 0 13 is_stmt 0                ; transpose_2d.py:0:13
	s_or_b64 exec, exec, s[0:1]
	.loc	1 13 27 is_stmt 1               ; transpose_2d.py:13:27
	s_or_b32 s0, s18, s12
	.loc	1 17 30                         ; transpose_2d.py:17:30
	s_cmp_lt_i32 s0, s7
	s_cselect_b64 s[2:3], -1, 0
	.loc	1 17 36 is_stmt 0               ; transpose_2d.py:17:36
	s_and_b64 s[2:3], vcc, s[2:3]
	.loc	1 19 13 is_stmt 1               ; transpose_2d.py:19:13
	s_and_saveexec_b64 s[6:7], s[2:3]
	s_cbranch_execz .LBB0_32
; %bb.31:
	.loc	1 18 37                         ; transpose_2d.py:18:37
	s_mul_i32 s0, s0, s10
	.loc	1 18 23 is_stmt 0               ; transpose_2d.py:18:23
	s_ashr_i32 s1, s0, 31
	s_lshl_b64 s[0:1], s[0:1], 2
	s_add_u32 s0, s4, s0
	s_addc_u32 s1, s5, s1
	.loc	1 18 49                         ; transpose_2d.py:18:49
	v_lshl_add_u64 v[0:1], v[0:1], 2, s[0:1]
	.loc	1 19 13 is_stmt 1               ; transpose_2d.py:19:13
	s_waitcnt lgkmcnt(0)
	global_store_dword v[0:1], v3, off
.LBB0_32:
	.loc	1 18 4                          ; transpose_2d.py:18:4
	s_endpgm
.Ltmp2:
	.section	.rodata,"a",@progbits
	.p2align	6, 0x0
	.amdhsa_kernel transpose_kernel
		.amdhsa_group_segment_fixed_size 0
		.amdhsa_private_segment_fixed_size 0
		.amdhsa_kernarg_size 56
		.amdhsa_user_sgpr_count 16
		.amdhsa_user_sgpr_dispatch_ptr 0
		.amdhsa_user_sgpr_queue_ptr 0
		.amdhsa_user_sgpr_kernarg_segment_ptr 1
		.amdhsa_user_sgpr_dispatch_id 0
		.amdhsa_user_sgpr_kernarg_preload_length 14
		.amdhsa_user_sgpr_kernarg_preload_offset 0
		.amdhsa_user_sgpr_private_segment_size 0
		.amdhsa_uses_dynamic_stack 0
		.amdhsa_enable_private_segment 0
		.amdhsa_system_sgpr_workgroup_id_x 1
		.amdhsa_system_sgpr_workgroup_id_y 1
		.amdhsa_system_sgpr_workgroup_id_z 0
		.amdhsa_system_sgpr_workgroup_info 0
		.amdhsa_system_vgpr_workitem_id 0
		.amdhsa_next_free_vgpr 14
		.amdhsa_next_free_sgpr 26
		.amdhsa_accum_offset 16
		.amdhsa_reserve_vcc 1
		.amdhsa_reserve_xnack_mask 1
		.amdhsa_float_round_mode_32 0
		.amdhsa_float_round_mode_16_64 0
		.amdhsa_float_denorm_mode_32 3
		.amdhsa_float_denorm_mode_16_64 3
		.amdhsa_dx10_clamp 1
		.amdhsa_ieee_mode 1
		.amdhsa_fp16_overflow 0
		.amdhsa_tg_split 0
		.amdhsa_exception_fp_ieee_invalid_op 0
		.amdhsa_exception_fp_denorm_src 0
		.amdhsa_exception_fp_ieee_div_zero 0
		.amdhsa_exception_fp_ieee_overflow 0
		.amdhsa_exception_fp_ieee_underflow 0
		.amdhsa_exception_fp_ieee_inexact 0
		.amdhsa_exception_int_div_zero 0
	.end_amdhsa_kernel
	.text
.Lfunc_end0:
	.size	transpose_kernel, .Lfunc_end0-transpose_kernel
	.cfi_endproc
                                        ; -- End function
	.set transpose_kernel.num_vgpr, 14
	.set transpose_kernel.num_agpr, 0
	.set transpose_kernel.numbered_sgpr, 26
	.set transpose_kernel.num_named_barrier, 0
	.set transpose_kernel.private_seg_size, 0
	.set transpose_kernel.uses_vcc, 1
	.set transpose_kernel.uses_flat_scratch, 0
	.set transpose_kernel.has_dyn_sized_stack, 0
	.set transpose_kernel.has_recursion, 0
	.set transpose_kernel.has_indirect_call, 0
	.section	.AMDGPU.csdata,"",@progbits
; Kernel info:
; codeLenInByte = 1820
; TotalNumSgprs: 32
; NumVgprs: 14
; NumAgprs: 0
; TotalNumVgprs: 14
; ScratchSize: 0
; MemoryBound: 0
; FloatMode: 240
; IeeeMode: 1
; LDSByteSize: 0 bytes/workgroup (compile time only)
; SGPRBlocks: 3
; VGPRBlocks: 1
; NumSGPRsForWavesPerEU: 32
; NumVGPRsForWavesPerEU: 14
; AccumOffset: 16
; Occupancy: 8
; WaveLimiterHint : 0
; COMPUTE_PGM_RSRC2:SCRATCH_EN: 0
; COMPUTE_PGM_RSRC2:USER_SGPR: 16
; COMPUTE_PGM_RSRC2:TRAP_HANDLER: 0
; COMPUTE_PGM_RSRC2:TGID_X_EN: 1
; COMPUTE_PGM_RSRC2:TGID_Y_EN: 1
; COMPUTE_PGM_RSRC2:TGID_Z_EN: 0
; COMPUTE_PGM_RSRC2:TIDIG_COMP_CNT: 0
; COMPUTE_PGM_RSRC3_GFX90A:ACCUM_OFFSET: 3
; COMPUTE_PGM_RSRC3_GFX90A:TG_SPLIT: 0
	.text
	.p2alignl 6, 3212836864
	.fill 256, 4, 3212836864
	.section	.AMDGPU.gpr_maximums,"",@progbits
	.set amdgpu.max_num_vgpr, 0
	.set amdgpu.max_num_agpr, 0
	.set amdgpu.max_num_sgpr, 0
	.set amdgpu.max_num_named_barrier, 0
	.text
	.section	.debug_abbrev,"",@progbits
	.byte	1                               ; Abbreviation Code
	.byte	17                              ; DW_TAG_compile_unit
	.byte	0                               ; DW_CHILDREN_no
	.byte	37                              ; DW_AT_producer
	.byte	14                              ; DW_FORM_strp
	.byte	19                              ; DW_AT_language
	.byte	5                               ; DW_FORM_data2
	.byte	3                               ; DW_AT_name
	.byte	14                              ; DW_FORM_strp
	.byte	16                              ; DW_AT_stmt_list
	.byte	23                              ; DW_FORM_sec_offset
	.byte	27                              ; DW_AT_comp_dir
	.byte	14                              ; DW_FORM_strp
	.byte	17                              ; DW_AT_low_pc
	.byte	1                               ; DW_FORM_addr
	.byte	18                              ; DW_AT_high_pc
	.byte	6                               ; DW_FORM_data4
	.byte	0                               ; EOM(1)
	.byte	0                               ; EOM(2)
	;; [unrolled: 1-line block ×3, first 2 shown]
	.section	.debug_info,"",@progbits
.Lcu_begin0:
	.long	.Ldebug_info_end0-.Ldebug_info_start0 ; Length of Unit
.Ldebug_info_start0:
	.short	4                               ; DWARF version number
	.long	.debug_abbrev                   ; Offset Into Abbrev. Section
	.byte	8                               ; Address Size (in bytes)
	.byte	1                               ; Abbrev [1] 0xb:0x1f DW_TAG_compile_unit
	.long	.Linfo_string0                  ; DW_AT_producer
	.short	2                               ; DW_AT_language
	.long	.Linfo_string1                  ; DW_AT_name
	.long	.Lline_table_start0             ; DW_AT_stmt_list
	.long	.Linfo_string2                  ; DW_AT_comp_dir
	.quad	.Lfunc_begin0                   ; DW_AT_low_pc
	.long	.Lfunc_end0-.Lfunc_begin0       ; DW_AT_high_pc
.Ldebug_info_end0:
	.section	.debug_str,"MS",@progbits,1
.Linfo_string0:
	.asciz	"triton"                        ; string offset=0
.Linfo_string1:
	.asciz	"transpose_2d.py"               ; string offset=7
.Linfo_string2:
	.asciz	"/root/src/amdgpu-assembly/repos/triton-lang__triton-aot" ; string offset=23
	.section	".note.GNU-stack","",@progbits
	.amdgpu_metadata
---
amdhsa.kernels:
  - .agpr_count:     0
    .args:
      - .address_space:  global
        .offset:         0
        .size:           8
        .value_kind:     global_buffer
      - .address_space:  global
        .offset:         8
        .size:           8
        .value_kind:     global_buffer
      - .offset:         16
        .size:           4
        .value_kind:     by_value
      - .offset:         20
        .size:           4
        .value_kind:     by_value
      - .offset:         24
        .size:           4
        .value_kind:     by_value
      - .offset:         28
        .size:           4
        .value_kind:     by_value
      - .offset:         32
        .size:           4
        .value_kind:     by_value
      - .offset:         36
        .size:           4
        .value_kind:     by_value
      - .address_space:  global
        .offset:         40
        .size:           8
        .value_kind:     global_buffer
      - .address_space:  global
        .offset:         48
        .size:           8
        .value_kind:     global_buffer
    .group_segment_fixed_size: 0
    .kernarg_segment_align: 8
    .kernarg_segment_size: 56
    .max_flat_workgroup_size: 512
    .name:           transpose_kernel
    .private_segment_fixed_size: 0
    .sgpr_count:     32
    .sgpr_spill_count: 0
    .symbol:         transpose_kernel.kd
    .uniform_work_group_size: 1
    .uses_dynamic_stack: false
    .vgpr_count:     14
    .vgpr_spill_count: 0
    .wavefront_size: 64
amdhsa.target:   amdgcn-amd-amdhsa--gfx950
amdhsa.version:
  - 1
  - 2
...

	.end_amdgpu_metadata
	.section	.debug_line,"",@progbits
.Lline_table_start0:
